;; amdgpu-corpus repo=triton-lang/triton kind=triton arch=gfx1100 opt=O3 lang=triton
	.amdgcn_target "amdgcn-amd-amdhsa--gfx1100"
	.amdhsa_code_object_version 5
	.text
	.globl	indirect_matmul_kernel          ; -- Begin function indirect_matmul_kernel
	.p2align	8
	.type	indirect_matmul_kernel,@function
indirect_matmul_kernel:                 ; @indirect_matmul_kernel
.Lfunc_begin0:
	.file	1 "/root/src/amdgpu-assembly/repos/triton-lang__triton-aot" "indirect_matmul.py"
	.loc	1 8 0                           ; indirect_matmul.py:8:0
	.cfi_sections .debug_frame
	.cfi_startproc
; %bb.0:
	s_clause 0x1
	s_load_b32 s12, s[0:1], 0x38
	s_load_b64 s[8:9], s[0:1], 0x30
.Ltmp0:
	.loc	1 23 40 prologue_end            ; indirect_matmul.py:23:40
	v_and_b32_e32 v91, 64, v0
	v_and_b32_e32 v2, 63, v0
	s_mov_b32 s7, 0x31027000
	s_mov_b32 s6, 0x7ffffffe
	s_clause 0x1
	s_load_b64 s[10:11], s[0:1], 0x10
	s_load_b32 s13, s[0:1], 0x18
	.loc	1 28 17                         ; indirect_matmul.py:28:17
	v_dual_mov_b32 v2, 0 :: v_dual_lshlrev_b32 v33, 1, v2
	.loc	1 33 22                         ; indirect_matmul.py:33:22
	v_lshrrev_b32_e32 v1, 4, v91
	.loc	1 32 25                         ; indirect_matmul.py:32:25
	s_waitcnt lgkmcnt(0)
	s_cmp_gt_i32 s12, 0
	.loc	1 33 22                         ; indirect_matmul.py:33:22
	s_mov_b32 s4, s8
	.loc	1 32 25                         ; indirect_matmul.py:32:25
	s_cselect_b32 s3, -1, 0
	.loc	1 33 22                         ; indirect_matmul.py:33:22
	s_and_b32 s5, s9, 0xffff
	v_cndmask_b32_e64 v1, 0x80000000, v1, s3
	.loc	1 32 25                         ; indirect_matmul.py:32:25
	s_cmp_lt_i32 s12, 1
	.loc	1 28 17                         ; indirect_matmul.py:28:17
	v_add_co_u32 v92, s2, s10, v33
	s_delay_alu instid0(VALU_DEP_1) | instskip(SKIP_2) | instid1(VALU_DEP_1)
	v_add_co_ci_u32_e64 v93, null, s11, 0, s2
	.loc	1 33 22                         ; indirect_matmul.py:33:22
	buffer_load_b32 v30, v1, s[4:7], 0 offen
	.loc	1 23 40                         ; indirect_matmul.py:23:40
	v_lshrrev_b32_e32 v1, 6, v0
	v_lshlrev_b32_e32 v1, 2, v1
	s_delay_alu instid0(VALU_DEP_1) | instskip(SKIP_1) | instid1(VALU_DEP_2)
	.loc	1 33 22                         ; indirect_matmul.py:33:22
	v_or_b32_e32 v3, 8, v1
	v_or_b32_e32 v4, 16, v1
	v_cndmask_b32_e64 v5, 0x80000000, v3, s3
	v_mov_b32_e32 v3, 0
	.loc	1 35 20                         ; indirect_matmul.py:35:20
	s_cbranch_scc1 .LBB0_2
; %bb.1:
	.loc	1 0 20 is_stmt 0                ; indirect_matmul.py:0:20
	s_waitcnt vmcnt(0)
	v_mul_lo_u32 v6, v30, s13
	s_delay_alu instid0(VALU_DEP_1) | instskip(NEXT) | instid1(VALU_DEP_1)
	v_ashrrev_i32_e32 v7, 31, v6
	v_lshlrev_b64 v[6:7], 1, v[6:7]
	s_delay_alu instid0(VALU_DEP_1) | instskip(NEXT) | instid1(VALU_DEP_1)
	v_add_co_u32 v6, vcc_lo, v92, v6
	v_add_co_ci_u32_e64 v7, null, v93, v7, vcc_lo
	.loc	1 35 20                         ; indirect_matmul.py:35:20
	global_load_u16 v3, v[6:7], off
.LBB0_2:
	.loc	1 0 0                           ; indirect_matmul.py:0
	buffer_load_b32 v32, v5, s[4:7], 0 offen
	.loc	1 35 20                         ; indirect_matmul.py:35:20
	v_cndmask_b32_e64 v5, 0, 1, s3
	.loc	1 0 0                           ; indirect_matmul.py:0
	v_cndmask_b32_e64 v4, 0x80000000, v4, s3
	.loc	1 35 20                         ; indirect_matmul.py:35:20
	s_and_not1_b32 vcc_lo, exec_lo, s3
	s_delay_alu instid0(VALU_DEP_2)
	v_cmp_ne_u32_e64 s2, 1, v5
	.loc	1 0 0                           ; indirect_matmul.py:0
	v_or_b32_e32 v5, 24, v1
	.loc	1 35 20                         ; indirect_matmul.py:35:20
	s_cbranch_vccnz .LBB0_4
; %bb.3:
	.loc	1 35 44                         ; indirect_matmul.py:35:44
	s_waitcnt vmcnt(0)
	v_mul_lo_u32 v6, v32, s13
	s_delay_alu instid0(VALU_DEP_1) | instskip(NEXT) | instid1(VALU_DEP_1)
	.loc	1 35 29                         ; indirect_matmul.py:35:29
	v_ashrrev_i32_e32 v7, 31, v6
	v_lshlrev_b64 v[6:7], 1, v[6:7]
	s_delay_alu instid0(VALU_DEP_1) | instskip(NEXT) | instid1(VALU_DEP_1)
	v_add_co_u32 v6, vcc_lo, v92, v6
	v_add_co_ci_u32_e64 v7, null, v93, v7, vcc_lo
	.loc	1 35 20                         ; indirect_matmul.py:35:20
	global_load_u16 v2, v[6:7], off
.LBB0_4:
	.loc	1 0 20                          ; indirect_matmul.py:0:20
	buffer_load_b32 v35, v4, s[4:7], 0 offen
	v_or_b32_e32 v6, 32, v1
	v_cndmask_b32_e64 v7, 0x80000000, v5, s3
	v_dual_mov_b32 v4, 0 :: v_dual_mov_b32 v5, 0
	.loc	1 35 20                         ; indirect_matmul.py:35:20
	s_and_b32 vcc_lo, exec_lo, s2
	s_cbranch_vccnz .LBB0_6
; %bb.5:
	.loc	1 35 44                         ; indirect_matmul.py:35:44
	s_waitcnt vmcnt(0)
	v_mul_lo_u32 v8, v35, s13
	s_delay_alu instid0(VALU_DEP_1) | instskip(NEXT) | instid1(VALU_DEP_1)
	.loc	1 35 29                         ; indirect_matmul.py:35:29
	v_ashrrev_i32_e32 v9, 31, v8
	v_lshlrev_b64 v[8:9], 1, v[8:9]
	s_delay_alu instid0(VALU_DEP_1) | instskip(NEXT) | instid1(VALU_DEP_1)
	v_add_co_u32 v8, vcc_lo, v92, v8
	v_add_co_ci_u32_e64 v9, null, v93, v9, vcc_lo
	.loc	1 35 20                         ; indirect_matmul.py:35:20
	global_load_u16 v5, v[8:9], off
.LBB0_6:
	.loc	1 0 20                          ; indirect_matmul.py:0:20
	buffer_load_b32 v36, v7, s[4:7], 0 offen
	v_or_b32_e32 v8, 40, v1
	v_cndmask_b32_e64 v6, 0x80000000, v6, s3
	.loc	1 35 20                         ; indirect_matmul.py:35:20
	s_and_b32 vcc_lo, exec_lo, s2
	s_cbranch_vccnz .LBB0_8
; %bb.7:
	.loc	1 35 44                         ; indirect_matmul.py:35:44
	s_waitcnt vmcnt(0)
	v_mul_lo_u32 v9, v36, s13
	s_delay_alu instid0(VALU_DEP_1) | instskip(NEXT) | instid1(VALU_DEP_1)
	.loc	1 35 29                         ; indirect_matmul.py:35:29
	v_ashrrev_i32_e32 v10, 31, v9
	v_lshlrev_b64 v[9:10], 1, v[9:10]
	s_delay_alu instid0(VALU_DEP_1) | instskip(NEXT) | instid1(VALU_DEP_1)
	v_add_co_u32 v9, vcc_lo, v92, v9
	v_add_co_ci_u32_e64 v10, null, v93, v10, vcc_lo
	.loc	1 35 20                         ; indirect_matmul.py:35:20
	global_load_u16 v4, v[9:10], off
.LBB0_8:
	.loc	1 0 20                          ; indirect_matmul.py:0:20
	buffer_load_b32 v37, v6, s[4:7], 0 offen
	v_or_b32_e32 v7, 48, v1
	v_cndmask_b32_e64 v9, 0x80000000, v8, s3
	v_mov_b32_e32 v6, 0
	v_mov_b32_e32 v8, 0
	.loc	1 35 20                         ; indirect_matmul.py:35:20
	s_and_b32 vcc_lo, exec_lo, s2
	s_cbranch_vccnz .LBB0_10
; %bb.9:
	.loc	1 35 44                         ; indirect_matmul.py:35:44
	s_waitcnt vmcnt(0)
	v_mul_lo_u32 v10, v37, s13
	s_delay_alu instid0(VALU_DEP_1) | instskip(NEXT) | instid1(VALU_DEP_1)
	.loc	1 35 29                         ; indirect_matmul.py:35:29
	v_ashrrev_i32_e32 v11, 31, v10
	v_lshlrev_b64 v[10:11], 1, v[10:11]
	s_delay_alu instid0(VALU_DEP_1) | instskip(NEXT) | instid1(VALU_DEP_1)
	v_add_co_u32 v10, vcc_lo, v92, v10
	v_add_co_ci_u32_e64 v11, null, v93, v11, vcc_lo
	.loc	1 35 20                         ; indirect_matmul.py:35:20
	global_load_u16 v8, v[10:11], off
.LBB0_10:
	.loc	1 0 20                          ; indirect_matmul.py:0:20
	buffer_load_b32 v38, v9, s[4:7], 0 offen
	v_or_b32_e32 v9, 56, v1
	v_cndmask_b32_e64 v7, 0x80000000, v7, s3
	.loc	1 35 20                         ; indirect_matmul.py:35:20
	s_and_b32 vcc_lo, exec_lo, s2
	s_cbranch_vccnz .LBB0_12
; %bb.11:
	.loc	1 35 44                         ; indirect_matmul.py:35:44
	s_waitcnt vmcnt(0)
	v_mul_lo_u32 v10, v38, s13
	s_delay_alu instid0(VALU_DEP_1) | instskip(NEXT) | instid1(VALU_DEP_1)
	.loc	1 35 29                         ; indirect_matmul.py:35:29
	v_ashrrev_i32_e32 v11, 31, v10
	v_lshlrev_b64 v[10:11], 1, v[10:11]
	s_delay_alu instid0(VALU_DEP_1) | instskip(NEXT) | instid1(VALU_DEP_1)
	v_add_co_u32 v10, vcc_lo, v92, v10
	v_add_co_ci_u32_e64 v11, null, v93, v11, vcc_lo
	.loc	1 35 20                         ; indirect_matmul.py:35:20
	global_load_u16 v6, v[10:11], off
.LBB0_12:
	.loc	1 0 20                          ; indirect_matmul.py:0:20
	buffer_load_b32 v39, v7, s[4:7], 0 offen
	v_or_b32_e32 v10, 64, v1
	v_cndmask_b32_e64 v11, 0x80000000, v9, s3
	v_mov_b32_e32 v7, 0
	v_mov_b32_e32 v9, 0
	.loc	1 35 20                         ; indirect_matmul.py:35:20
	s_and_b32 vcc_lo, exec_lo, s2
	s_cbranch_vccnz .LBB0_14
; %bb.13:
	.loc	1 35 44                         ; indirect_matmul.py:35:44
	s_waitcnt vmcnt(0)
	v_mul_lo_u32 v12, v39, s13
	s_delay_alu instid0(VALU_DEP_1) | instskip(NEXT) | instid1(VALU_DEP_1)
	.loc	1 35 29                         ; indirect_matmul.py:35:29
	v_ashrrev_i32_e32 v13, 31, v12
	v_lshlrev_b64 v[12:13], 1, v[12:13]
	s_delay_alu instid0(VALU_DEP_1) | instskip(NEXT) | instid1(VALU_DEP_1)
	v_add_co_u32 v12, vcc_lo, v92, v12
	v_add_co_ci_u32_e64 v13, null, v93, v13, vcc_lo
	.loc	1 35 20                         ; indirect_matmul.py:35:20
	global_load_u16 v9, v[12:13], off
.LBB0_14:
	.loc	1 0 20                          ; indirect_matmul.py:0:20
	buffer_load_b32 v40, v11, s[4:7], 0 offen
	v_or_b32_e32 v11, 0x48, v1
	v_cndmask_b32_e64 v10, 0x80000000, v10, s3
	.loc	1 35 20                         ; indirect_matmul.py:35:20
	s_and_b32 vcc_lo, exec_lo, s2
	s_cbranch_vccnz .LBB0_16
; %bb.15:
	.loc	1 35 44                         ; indirect_matmul.py:35:44
	s_waitcnt vmcnt(0)
	v_mul_lo_u32 v12, v40, s13
	s_delay_alu instid0(VALU_DEP_1) | instskip(NEXT) | instid1(VALU_DEP_1)
	.loc	1 35 29                         ; indirect_matmul.py:35:29
	v_ashrrev_i32_e32 v13, 31, v12
	v_lshlrev_b64 v[12:13], 1, v[12:13]
	s_delay_alu instid0(VALU_DEP_1) | instskip(NEXT) | instid1(VALU_DEP_1)
	v_add_co_u32 v12, vcc_lo, v92, v12
	v_add_co_ci_u32_e64 v13, null, v93, v13, vcc_lo
	.loc	1 35 20                         ; indirect_matmul.py:35:20
	global_load_u16 v7, v[12:13], off
.LBB0_16:
	.loc	1 0 20                          ; indirect_matmul.py:0:20
	buffer_load_b32 v41, v10, s[4:7], 0 offen
	v_or_b32_e32 v12, 0x50, v1
	v_cndmask_b32_e64 v13, 0x80000000, v11, s3
	v_dual_mov_b32 v10, 0 :: v_dual_mov_b32 v11, 0
	.loc	1 35 20                         ; indirect_matmul.py:35:20
	s_and_b32 vcc_lo, exec_lo, s2
	s_cbranch_vccnz .LBB0_18
; %bb.17:
	.loc	1 35 44                         ; indirect_matmul.py:35:44
	s_waitcnt vmcnt(0)
	v_mul_lo_u32 v14, v41, s13
	s_delay_alu instid0(VALU_DEP_1) | instskip(NEXT) | instid1(VALU_DEP_1)
	.loc	1 35 29                         ; indirect_matmul.py:35:29
	v_ashrrev_i32_e32 v15, 31, v14
	v_lshlrev_b64 v[14:15], 1, v[14:15]
	s_delay_alu instid0(VALU_DEP_1) | instskip(NEXT) | instid1(VALU_DEP_1)
	v_add_co_u32 v14, vcc_lo, v92, v14
	v_add_co_ci_u32_e64 v15, null, v93, v15, vcc_lo
	.loc	1 35 20                         ; indirect_matmul.py:35:20
	global_load_u16 v11, v[14:15], off
.LBB0_18:
	.loc	1 0 20                          ; indirect_matmul.py:0:20
	buffer_load_b32 v42, v13, s[4:7], 0 offen
	v_or_b32_e32 v13, 0x58, v1
	v_cndmask_b32_e64 v12, 0x80000000, v12, s3
	.loc	1 35 20                         ; indirect_matmul.py:35:20
	s_and_b32 vcc_lo, exec_lo, s2
	s_cbranch_vccnz .LBB0_20
; %bb.19:
	.loc	1 35 44                         ; indirect_matmul.py:35:44
	s_waitcnt vmcnt(0)
	v_mul_lo_u32 v14, v42, s13
	s_delay_alu instid0(VALU_DEP_1) | instskip(NEXT) | instid1(VALU_DEP_1)
	.loc	1 35 29                         ; indirect_matmul.py:35:29
	v_ashrrev_i32_e32 v15, 31, v14
	v_lshlrev_b64 v[14:15], 1, v[14:15]
	s_delay_alu instid0(VALU_DEP_1) | instskip(NEXT) | instid1(VALU_DEP_1)
	v_add_co_u32 v14, vcc_lo, v92, v14
	v_add_co_ci_u32_e64 v15, null, v93, v15, vcc_lo
	.loc	1 35 20                         ; indirect_matmul.py:35:20
	global_load_u16 v10, v[14:15], off
.LBB0_20:
	.loc	1 0 20                          ; indirect_matmul.py:0:20
	buffer_load_b32 v44, v12, s[4:7], 0 offen
	v_or_b32_e32 v14, 0x60, v1
	v_cndmask_b32_e64 v15, 0x80000000, v13, s3
	v_dual_mov_b32 v12, 0 :: v_dual_mov_b32 v13, 0
	;; [unrolled: 43-line block ×11, first 2 shown]
	.loc	1 35 20                         ; indirect_matmul.py:35:20
	s_and_b32 vcc_lo, exec_lo, s2
	s_cbranch_vccnz .LBB0_58
; %bb.57:
	.loc	1 35 44                         ; indirect_matmul.py:35:44
	s_waitcnt vmcnt(0)
	v_mul_lo_u32 v64, v63, s13
	s_delay_alu instid0(VALU_DEP_1) | instskip(NEXT) | instid1(VALU_DEP_1)
	.loc	1 35 29                         ; indirect_matmul.py:35:29
	v_ashrrev_i32_e32 v65, 31, v64
	v_lshlrev_b64 v[64:65], 1, v[64:65]
	s_delay_alu instid0(VALU_DEP_1) | instskip(NEXT) | instid1(VALU_DEP_1)
	v_add_co_u32 v64, vcc_lo, v92, v64
	v_add_co_ci_u32_e64 v65, null, v93, v65, vcc_lo
	.loc	1 35 20                         ; indirect_matmul.py:35:20
	global_load_u16 v34, v[64:65], off
.LBB0_58:
	.loc	1 0 20                          ; indirect_matmul.py:0:20
	buffer_load_b32 v64, v45, s[4:7], 0 offen
	v_or_b32_e32 v45, 0xf8, v1
	v_cndmask_b32_e64 v43, 0x80000000, v43, s3
	.loc	1 35 20                         ; indirect_matmul.py:35:20
	s_and_b32 vcc_lo, exec_lo, s2
	s_cbranch_vccnz .LBB0_60
; %bb.59:
	.loc	1 35 44                         ; indirect_matmul.py:35:44
	s_waitcnt vmcnt(0)
	v_mul_lo_u32 v65, v64, s13
	s_delay_alu instid0(VALU_DEP_1) | instskip(NEXT) | instid1(VALU_DEP_1)
	.loc	1 35 29                         ; indirect_matmul.py:35:29
	v_ashrrev_i32_e32 v66, 31, v65
	v_lshlrev_b64 v[65:66], 1, v[65:66]
	s_delay_alu instid0(VALU_DEP_1) | instskip(NEXT) | instid1(VALU_DEP_1)
	v_add_co_u32 v65, vcc_lo, v92, v65
	v_add_co_ci_u32_e64 v66, null, v93, v66, vcc_lo
	.loc	1 35 20                         ; indirect_matmul.py:35:20
	global_load_u16 v31, v[65:66], off
.LBB0_60:
	.loc	1 0 20                          ; indirect_matmul.py:0:20
	buffer_load_b32 v65, v43, s[4:7], 0 offen
	s_load_b64 s[10:11], s[0:1], 0x20
	v_cndmask_b32_e64 v66, 0x80000000, v45, s3
	v_mov_b32_e32 v43, 0
	v_mov_b32_e32 v45, 0
	.loc	1 35 20                         ; indirect_matmul.py:35:20
	s_and_b32 vcc_lo, exec_lo, s2
	s_cbranch_vccnz .LBB0_62
; %bb.61:
	.loc	1 35 44                         ; indirect_matmul.py:35:44
	s_waitcnt vmcnt(0)
	v_mul_lo_u32 v67, v65, s13
	s_delay_alu instid0(VALU_DEP_1) | instskip(NEXT) | instid1(VALU_DEP_1)
	.loc	1 35 29                         ; indirect_matmul.py:35:29
	v_ashrrev_i32_e32 v68, 31, v67
	v_lshlrev_b64 v[67:68], 1, v[67:68]
	s_delay_alu instid0(VALU_DEP_1) | instskip(NEXT) | instid1(VALU_DEP_1)
	v_add_co_u32 v67, vcc_lo, v92, v67
	v_add_co_ci_u32_e64 v68, null, v93, v68, vcc_lo
	.loc	1 35 20                         ; indirect_matmul.py:35:20
	global_load_u16 v45, v[67:68], off
.LBB0_62:
	.loc	1 0 20                          ; indirect_matmul.py:0:20
	buffer_load_b32 v66, v66, s[4:7], 0 offen
	.loc	1 35 20                         ; indirect_matmul.py:35:20
	s_and_b32 vcc_lo, exec_lo, s2
	s_cbranch_vccnz .LBB0_64
; %bb.63:
	.loc	1 35 44                         ; indirect_matmul.py:35:44
	s_waitcnt vmcnt(0)
	v_mul_lo_u32 v67, v66, s13
	s_delay_alu instid0(VALU_DEP_1) | instskip(NEXT) | instid1(VALU_DEP_1)
	.loc	1 35 29                         ; indirect_matmul.py:35:29
	v_ashrrev_i32_e32 v68, 31, v67
	v_lshlrev_b64 v[67:68], 1, v[67:68]
	s_delay_alu instid0(VALU_DEP_1) | instskip(NEXT) | instid1(VALU_DEP_1)
	v_add_co_u32 v67, vcc_lo, v92, v67
	v_add_co_ci_u32_e64 v68, null, v93, v68, vcc_lo
	.loc	1 35 20                         ; indirect_matmul.py:35:20
	global_load_u16 v43, v[67:68], off
.LBB0_64:
	.loc	1 0 20                          ; indirect_matmul.py:0:20
	s_load_b32 s4, s[0:1], 0x28
	.loc	1 29 17 is_stmt 1               ; indirect_matmul.py:29:17
	s_waitcnt lgkmcnt(0)
	v_add_co_u32 v110, s3, s10, v33
	v_dual_mov_b32 v95, 0 :: v_dual_mov_b32 v96, 0
	v_add_co_ci_u32_e64 v111, null, s11, 0, s3
	.loc	1 36 20                         ; indirect_matmul.py:36:20
	s_and_b32 vcc_lo, exec_lo, s2
	s_cbranch_vccnz .LBB0_66
; %bb.65:
	.loc	1 0 20 is_stmt 0                ; indirect_matmul.py:0:20
	s_waitcnt vmcnt(31)
	v_mul_lo_u32 v67, v30, s4
	s_delay_alu instid0(VALU_DEP_1) | instskip(NEXT) | instid1(VALU_DEP_1)
	v_ashrrev_i32_e32 v68, 31, v67
	v_lshlrev_b64 v[67:68], 1, v[67:68]
	s_delay_alu instid0(VALU_DEP_1) | instskip(NEXT) | instid1(VALU_DEP_1)
	v_add_co_u32 v67, vcc_lo, v110, v67
	v_add_co_ci_u32_e64 v68, null, v111, v68, vcc_lo
	.loc	1 36 20                         ; indirect_matmul.py:36:20
	global_load_u16 v96, v[67:68], off
.LBB0_66:
	s_and_b32 vcc_lo, exec_lo, s2
	s_cbranch_vccnz .LBB0_68
; %bb.67:
	.loc	1 36 44                         ; indirect_matmul.py:36:44
	s_waitcnt vmcnt(30)
	v_mul_lo_u32 v32, v32, s4
	s_delay_alu instid0(VALU_DEP_1) | instskip(NEXT) | instid1(VALU_DEP_1)
	.loc	1 36 29                         ; indirect_matmul.py:36:29
	v_ashrrev_i32_e32 v33, 31, v32
	v_lshlrev_b64 v[32:33], 1, v[32:33]
	s_delay_alu instid0(VALU_DEP_1) | instskip(NEXT) | instid1(VALU_DEP_1)
	v_add_co_u32 v32, vcc_lo, v110, v32
	v_add_co_ci_u32_e64 v33, null, v111, v33, vcc_lo
	.loc	1 36 20                         ; indirect_matmul.py:36:20
	global_load_u16 v95, v[32:33], off
.LBB0_68:
	.loc	1 0 20                          ; indirect_matmul.py:0:20
	v_dual_mov_b32 v97, 0 :: v_dual_mov_b32 v98, 0
	.loc	1 36 20                         ; indirect_matmul.py:36:20
	s_and_b32 vcc_lo, exec_lo, s2
	s_cbranch_vccnz .LBB0_70
; %bb.69:
	.loc	1 36 44                         ; indirect_matmul.py:36:44
	s_waitcnt vmcnt(29)
	v_mul_lo_u32 v32, v35, s4
	s_delay_alu instid0(VALU_DEP_1) | instskip(NEXT) | instid1(VALU_DEP_1)
	.loc	1 36 29                         ; indirect_matmul.py:36:29
	v_ashrrev_i32_e32 v33, 31, v32
	v_lshlrev_b64 v[32:33], 1, v[32:33]
	s_delay_alu instid0(VALU_DEP_1) | instskip(NEXT) | instid1(VALU_DEP_1)
	v_add_co_u32 v32, vcc_lo, v110, v32
	v_add_co_ci_u32_e64 v33, null, v111, v33, vcc_lo
	.loc	1 36 20                         ; indirect_matmul.py:36:20
	global_load_u16 v98, v[32:33], off
.LBB0_70:
	s_and_b32 vcc_lo, exec_lo, s2
	s_cbranch_vccnz .LBB0_72
; %bb.71:
	.loc	1 36 44                         ; indirect_matmul.py:36:44
	s_waitcnt vmcnt(28)
	v_mul_lo_u32 v32, v36, s4
	s_delay_alu instid0(VALU_DEP_1) | instskip(NEXT) | instid1(VALU_DEP_1)
	.loc	1 36 29                         ; indirect_matmul.py:36:29
	v_ashrrev_i32_e32 v33, 31, v32
	v_lshlrev_b64 v[32:33], 1, v[32:33]
	s_delay_alu instid0(VALU_DEP_1) | instskip(NEXT) | instid1(VALU_DEP_1)
	v_add_co_u32 v32, vcc_lo, v110, v32
	v_add_co_ci_u32_e64 v33, null, v111, v33, vcc_lo
	.loc	1 36 20                         ; indirect_matmul.py:36:20
	global_load_u16 v97, v[32:33], off
.LBB0_72:
	.loc	1 0 20                          ; indirect_matmul.py:0:20
	v_dual_mov_b32 v99, 0 :: v_dual_mov_b32 v100, 0
	.loc	1 36 20                         ; indirect_matmul.py:36:20
	s_and_b32 vcc_lo, exec_lo, s2
	s_cbranch_vccnz .LBB0_74
; %bb.73:
	.loc	1 36 44                         ; indirect_matmul.py:36:44
	s_waitcnt vmcnt(27)
	v_mul_lo_u32 v32, v37, s4
	s_delay_alu instid0(VALU_DEP_1) | instskip(NEXT) | instid1(VALU_DEP_1)
	.loc	1 36 29                         ; indirect_matmul.py:36:29
	v_ashrrev_i32_e32 v33, 31, v32
	v_lshlrev_b64 v[32:33], 1, v[32:33]
	s_delay_alu instid0(VALU_DEP_1) | instskip(NEXT) | instid1(VALU_DEP_1)
	v_add_co_u32 v32, vcc_lo, v110, v32
	v_add_co_ci_u32_e64 v33, null, v111, v33, vcc_lo
	.loc	1 36 20                         ; indirect_matmul.py:36:20
	global_load_u16 v100, v[32:33], off
.LBB0_74:
	;; [unrolled: 35-line block ×15, first 2 shown]
	s_and_b32 vcc_lo, exec_lo, s2
	s_cbranch_vccnz .LBB0_128
; %bb.127:
	.loc	1 36 44                         ; indirect_matmul.py:36:44
	s_waitcnt vmcnt(0)
	v_mul_lo_u32 v32, v66, s4
	s_delay_alu instid0(VALU_DEP_1) | instskip(NEXT) | instid1(VALU_DEP_1)
	.loc	1 36 29                         ; indirect_matmul.py:36:29
	v_ashrrev_i32_e32 v33, 31, v32
	v_lshlrev_b64 v[32:33], 1, v[32:33]
	s_delay_alu instid0(VALU_DEP_1) | instskip(NEXT) | instid1(VALU_DEP_1)
	v_add_co_u32 v32, vcc_lo, v110, v32
	v_add_co_ci_u32_e64 v33, null, v111, v33, vcc_lo
	.loc	1 36 20                         ; indirect_matmul.py:36:20
	global_load_u16 v133, v[32:33], off
.LBB0_128:
	.loc	1 35 20 is_stmt 1               ; indirect_matmul.py:35:20
	s_waitcnt vmcnt(31)
	v_lshlrev_b32_e32 v30, 1, v0
	s_load_b64 s[2:3], s[0:1], 0x0
	.loc	1 26 35                         ; indirect_matmul.py:26:35
	v_and_b32_e32 v94, 32, v0
	v_lshrrev_b32_e32 v127, 1, v91
	.loc	1 32 25                         ; indirect_matmul.py:32:25
	s_sub_i32 s6, s12, 64
	.loc	1 35 20                         ; indirect_matmul.py:35:20
	v_add_nc_u32_e32 v119, 0, v30
	s_waitcnt vmcnt(30)
	v_or_b32_e32 v32, 0x700, v30
	v_or_b32_e32 v33, 0xf00, v30
	s_mov_b32 s5, 0
	.loc	1 32 25                         ; indirect_matmul.py:32:25
	s_cmp_lt_i32 s6, 1
	.loc	1 35 20                         ; indirect_matmul.py:35:20
	ds_store_b16 v119, v3
	ds_store_b16 v119, v2 offset:256
	s_waitcnt vmcnt(29)
	ds_store_b16 v119, v5 offset:512
	s_waitcnt vmcnt(28)
	;; [unrolled: 2-line block ×6, first 2 shown]
	ds_store_b16 v119, v11 offset:2048
	v_or_b32_e32 v2, 0x1700, v30
	v_add_nc_u32_e32 v122, 0, v32
	v_add_nc_u32_e32 v123, 0, v33
	s_waitcnt vmcnt(22)
	ds_store_b16 v119, v10 offset:2304
	s_waitcnt vmcnt(21)
	ds_store_b16 v119, v13 offset:2560
	;; [unrolled: 2-line block ×16, first 2 shown]
	v_add_nc_u32_e32 v124, 0, v2
	v_or_b32_e32 v2, 0x1f00, v30
	s_delay_alu instid0(VALU_DEP_1)
	v_add_nc_u32_e32 v128, 0, v2
	s_waitcnt vmcnt(4)
	ds_store_b16 v119, v28 offset:6912
	s_waitcnt vmcnt(3)
	ds_store_b16 v119, v34 offset:7168
	s_waitcnt vmcnt(2)
	ds_store_b16 v119, v31 offset:7424
	ds_store_b16 v122, v7
	ds_store_b16 v123, v16
	;; [unrolled: 1-line block ×3, first 2 shown]
	s_waitcnt vmcnt(1)
	ds_store_b16 v119, v45 offset:7680
	s_waitcnt vmcnt(0)
	ds_store_b16 v128, v43
	.loc	1 32 25                         ; indirect_matmul.py:32:25
	s_cbranch_scc1 .LBB0_131
; %bb.129:                              ; %.lr.ph
	v_dual_mov_b32 v9, 0 :: v_dual_and_b32 v2, 30, v30
	v_add_co_u32 v1, s7, s8, v1
	s_delay_alu instid0(VALU_DEP_2) | instskip(SKIP_2) | instid1(VALU_DEP_4)
	v_add3_u32 v135, 0, v94, v2
	v_add3_u32 v136, 0, v127, v2
	v_add_co_ci_u32_e64 v2, null, s9, 0, s7
	v_add_co_u32 v89, vcc_lo, 0x1f8, v1
	v_mov_b32_e32 v10, v9
	s_delay_alu instid0(VALU_DEP_3)
	v_add_co_ci_u32_e64 v90, null, 0, v2, vcc_lo
	v_mov_b32_e32 v11, v9
	v_mov_b32_e32 v12, v9
	;; [unrolled: 1-line block ×30, first 2 shown]
.LBB0_130:                              ; =>This Inner Loop Header: Depth=1
	.loc	1 33 22                         ; indirect_matmul.py:33:22
	s_clause 0x1f
	global_load_b32 v49, v[89:90], off offset:-248
	global_load_b32 v50, v[89:90], off offset:-240
	;; [unrolled: 1-line block ×31, first 2 shown]
	global_load_b32 v80, v[89:90], off
	.loc	1 32 25                         ; indirect_matmul.py:32:25
	s_add_i32 s5, s5, 64
	s_delay_alu instid0(SALU_CYCLE_1)
	s_cmp_lt_i32 s5, s6
	.loc	1 35 44                         ; indirect_matmul.py:35:44
	s_waitcnt vmcnt(31)
	v_mul_lo_u32 v33, v49, s13
	s_waitcnt vmcnt(30)
	v_mul_lo_u32 v35, v50, s13
	;; [unrolled: 2-line block ×8, first 2 shown]
	.loc	1 35 29 is_stmt 0               ; indirect_matmul.py:35:29
	v_ashrrev_i32_e32 v34, 31, v33
	v_ashrrev_i32_e32 v36, 31, v35
	;; [unrolled: 1-line block ×4, first 2 shown]
	.loc	1 35 44                         ; indirect_matmul.py:35:44
	s_waitcnt vmcnt(23)
	v_mul_lo_u32 v81, v57, s13
	.loc	1 35 29                         ; indirect_matmul.py:35:29
	v_lshlrev_b64 v[33:34], 1, v[33:34]
	v_lshlrev_b64 v[35:36], 1, v[35:36]
	v_ashrrev_i32_e32 v42, 31, v41
	v_lshlrev_b64 v[37:38], 1, v[37:38]
	.loc	1 35 44                         ; indirect_matmul.py:35:44
	s_waitcnt vmcnt(22)
	v_mul_lo_u32 v83, v58, s13
	.loc	1 35 29                         ; indirect_matmul.py:35:29
	v_ashrrev_i32_e32 v44, 31, v43
	v_lshlrev_b64 v[39:40], 1, v[39:40]
	v_add_co_u32 v177, vcc_lo, v92, v33
	.loc	1 35 44                         ; indirect_matmul.py:35:44
	s_waitcnt vmcnt(21)
	v_mul_lo_u32 v85, v59, s13
	.loc	1 35 29                         ; indirect_matmul.py:35:29
	v_ashrrev_i32_e32 v46, 31, v45
	v_lshlrev_b64 v[41:42], 1, v[41:42]
	v_add_co_ci_u32_e64 v178, null, v93, v34, vcc_lo
	v_add_co_u32 v179, vcc_lo, v92, v35
	.loc	1 35 44                         ; indirect_matmul.py:35:44
	s_waitcnt vmcnt(20)
	v_mul_lo_u32 v87, v60, s13
	.loc	1 35 29                         ; indirect_matmul.py:35:29
	v_ashrrev_i32_e32 v48, 31, v47
	v_lshlrev_b64 v[43:44], 1, v[43:44]
	v_add_co_ci_u32_e64 v180, null, v93, v36, vcc_lo
	;; [unrolled: 8-line block ×22, first 2 shown]
	v_add_co_u32 v207, vcc_lo, v92, v157
	v_ashrrev_i32_e32 v170, 31, v169
	v_lshlrev_b64 v[165:166], 1, v[165:166]
	v_add_co_ci_u32_e64 v208, null, v93, v158, vcc_lo
	v_add_co_u32 v209, vcc_lo, v92, v159
	v_ashrrev_i32_e32 v172, 31, v171
	v_lshlrev_b64 v[167:168], 1, v[167:168]
	v_add_co_ci_u32_e64 v210, null, v93, v160, vcc_lo
	;; [unrolled: 4-line block ×4, first 2 shown]
	v_add_co_u32 v37, vcc_lo, v92, v165
	v_lshlrev_b64 v[173:174], 1, v[173:174]
	v_add_co_ci_u32_e64 v38, null, v93, v166, vcc_lo
	v_add_co_u32 v39, vcc_lo, v92, v167
	v_lshlrev_b64 v[175:176], 1, v[175:176]
	v_add_co_ci_u32_e64 v40, null, v93, v168, vcc_lo
	v_add_co_u32 v41, vcc_lo, v92, v169
	s_delay_alu instid0(VALU_DEP_1) | instskip(SKIP_1) | instid1(VALU_DEP_1)
	v_add_co_ci_u32_e64 v42, null, v93, v170, vcc_lo
	v_add_co_u32 v43, vcc_lo, v92, v171
	v_add_co_ci_u32_e64 v44, null, v93, v172, vcc_lo
	v_add_co_u32 v45, vcc_lo, v92, v173
	s_delay_alu instid0(VALU_DEP_1) | instskip(SKIP_1) | instid1(VALU_DEP_1)
	v_add_co_ci_u32_e64 v46, null, v93, v174, vcc_lo
	v_add_co_u32 v47, vcc_lo, v92, v175
	v_add_co_ci_u32_e64 v48, null, v93, v176, vcc_lo
	.loc	1 35 20                         ; indirect_matmul.py:35:20
	s_clause 0x1f
	global_load_u16 v160, v[177:178], off
	global_load_u16 v152, v[179:180], off
	;; [unrolled: 1-line block ×32, first 2 shown]
	.loc	1 36 44 is_stmt 1               ; indirect_matmul.py:36:44
	v_mul_lo_u32 v33, v49, s4
	v_mul_lo_u32 v35, v50, s4
	;; [unrolled: 1-line block ×8, first 2 shown]
	.loc	1 36 29 is_stmt 0               ; indirect_matmul.py:36:29
	v_ashrrev_i32_e32 v34, 31, v33
	v_ashrrev_i32_e32 v36, 31, v35
	;; [unrolled: 1-line block ×4, first 2 shown]
	.loc	1 36 44                         ; indirect_matmul.py:36:44
	v_mul_lo_u32 v49, v57, s4
	.loc	1 36 29                         ; indirect_matmul.py:36:29
	v_lshlrev_b64 v[33:34], 1, v[33:34]
	v_lshlrev_b64 v[35:36], 1, v[35:36]
	v_ashrrev_i32_e32 v42, 31, v41
	v_lshlrev_b64 v[37:38], 1, v[37:38]
	.loc	1 36 44                         ; indirect_matmul.py:36:44
	v_mul_lo_u32 v51, v58, s4
	.loc	1 36 29                         ; indirect_matmul.py:36:29
	v_ashrrev_i32_e32 v44, 31, v43
	v_lshlrev_b64 v[39:40], 1, v[39:40]
	v_add_co_u32 v33, vcc_lo, v110, v33
	.loc	1 36 44                         ; indirect_matmul.py:36:44
	v_mul_lo_u32 v53, v59, s4
	.loc	1 36 29                         ; indirect_matmul.py:36:29
	v_ashrrev_i32_e32 v46, 31, v45
	v_lshlrev_b64 v[41:42], 1, v[41:42]
	v_add_co_ci_u32_e64 v34, null, v111, v34, vcc_lo
	v_add_co_u32 v35, vcc_lo, v110, v35
	.loc	1 36 44                         ; indirect_matmul.py:36:44
	v_mul_lo_u32 v55, v60, s4
	.loc	1 36 29                         ; indirect_matmul.py:36:29
	v_ashrrev_i32_e32 v48, 31, v47
	v_lshlrev_b64 v[43:44], 1, v[43:44]
	v_add_co_ci_u32_e64 v36, null, v111, v36, vcc_lo
	;; [unrolled: 7-line block ×15, first 2 shown]
	v_add_co_u32 v63, vcc_lo, v110, v63
	v_dual_mov_b32 v177, v96 :: v_dual_mov_b32 v178, v95
	.loc	1 36 44                         ; indirect_matmul.py:36:44
	v_mul_lo_u32 v95, v74, s4
	.loc	1 36 29                         ; indirect_matmul.py:36:29
	v_ashrrev_i32_e32 v86, 31, v85
	v_lshlrev_b64 v[83:84], 1, v[83:84]
	v_add_co_ci_u32_e64 v64, null, v111, v64, vcc_lo
	v_add_co_u32 v65, vcc_lo, v110, v65
	.loc	1 36 44                         ; indirect_matmul.py:36:44
	v_mul_lo_u32 v75, v75, s4
	.loc	1 36 29                         ; indirect_matmul.py:36:29
	v_ashrrev_i32_e32 v72, 31, v71
	v_lshlrev_b64 v[69:70], 1, v[69:70]
	v_add_co_ci_u32_e64 v66, null, v111, v66, vcc_lo
	v_add_co_u32 v81, vcc_lo, v110, v81
	v_dual_mov_b32 v179, v98 :: v_dual_mov_b32 v180, v97
	.loc	1 36 44                         ; indirect_matmul.py:36:44
	v_mul_lo_u32 v97, v76, s4
	.loc	1 36 29                         ; indirect_matmul.py:36:29
	v_ashrrev_i32_e32 v88, 31, v87
	v_lshlrev_b64 v[85:86], 1, v[85:86]
	v_add_co_ci_u32_e64 v82, null, v111, v82, vcc_lo
	v_add_co_u32 v67, vcc_lo, v110, v67
	.loc	1 36 44                         ; indirect_matmul.py:36:44
	v_mul_lo_u32 v77, v77, s4
	.loc	1 36 29                         ; indirect_matmul.py:36:29
	v_ashrrev_i32_e32 v74, 31, v73
	v_lshlrev_b64 v[71:72], 1, v[71:72]
	v_add_co_ci_u32_e64 v68, null, v111, v68, vcc_lo
	;; [unrolled: 15-line block ×3, first 2 shown]
	v_add_co_u32 v85, vcc_lo, v110, v85
	v_dual_mov_b32 v183, v102 :: v_dual_mov_b32 v184, v101
	.loc	1 36 44                         ; indirect_matmul.py:36:44
	v_mul_lo_u32 v101, v80, s4
	.loc	1 36 29                         ; indirect_matmul.py:36:29
	v_ashrrev_i32_e32 v98, 31, v97
	v_lshlrev_b64 v[95:96], 1, v[95:96]
	v_add_co_ci_u32_e64 v86, null, v111, v86, vcc_lo
	v_add_co_u32 v71, vcc_lo, v110, v71
	v_ashrrev_i32_e32 v78, 31, v77
	v_lshlrev_b64 v[75:76], 1, v[75:76]
	v_add_co_ci_u32_e64 v72, null, v111, v72, vcc_lo
	v_add_co_u32 v87, vcc_lo, v110, v87
	v_ashrrev_i32_e32 v100, 31, v99
	v_lshlrev_b64 v[97:98], 1, v[97:98]
	v_add_co_ci_u32_e64 v88, null, v111, v88, vcc_lo
	v_add_co_u32 v73, vcc_lo, v110, v73
	v_ashrrev_i32_e32 v80, 31, v79
	v_dual_mov_b32 v203, v130 :: v_dual_mov_b32 v204, v129
	v_lshlrev_b64 v[77:78], 1, v[77:78]
	v_add_co_ci_u32_e64 v74, null, v111, v74, vcc_lo
	v_add_co_u32 v129, vcc_lo, v110, v95
	v_ashrrev_i32_e32 v102, 31, v101
	v_lshlrev_b64 v[99:100], 1, v[99:100]
	v_add_co_ci_u32_e64 v130, null, v111, v96, vcc_lo
	v_add_co_u32 v75, vcc_lo, v110, v75
	v_dual_mov_b32 v205, v132 :: v_dual_mov_b32 v206, v131
	v_lshlrev_b64 v[79:80], 1, v[79:80]
	v_add_co_ci_u32_e64 v76, null, v111, v76, vcc_lo
	v_add_co_u32 v131, vcc_lo, v110, v97
	v_lshlrev_b64 v[101:102], 1, v[101:102]
	v_add_co_ci_u32_e64 v132, null, v111, v98, vcc_lo
	v_add_co_u32 v77, vcc_lo, v110, v77
	v_dual_mov_b32 v207, v134 :: v_dual_mov_b32 v208, v133
	v_add_co_ci_u32_e64 v78, null, v111, v78, vcc_lo
	v_add_co_u32 v133, vcc_lo, v110, v99
	s_delay_alu instid0(VALU_DEP_1) | instskip(SKIP_1) | instid1(VALU_DEP_1)
	v_add_co_ci_u32_e64 v134, null, v111, v100, vcc_lo
	v_add_co_u32 v79, vcc_lo, v110, v79
	v_add_co_ci_u32_e64 v80, null, v111, v80, vcc_lo
	v_add_co_u32 v169, vcc_lo, v110, v101
	s_delay_alu instid0(VALU_DEP_1)
	v_add_co_ci_u32_e64 v170, null, v111, v102, vcc_lo
	v_dual_mov_b32 v185, v104 :: v_dual_mov_b32 v186, v103
	v_dual_mov_b32 v187, v106 :: v_dual_mov_b32 v188, v105
	v_dual_mov_b32 v189, v108 :: v_dual_mov_b32 v190, v107
	v_dual_mov_b32 v191, v112 :: v_dual_mov_b32 v192, v109
	v_dual_mov_b32 v193, v114 :: v_dual_mov_b32 v194, v113
	v_dual_mov_b32 v195, v116 :: v_dual_mov_b32 v196, v115
	v_dual_mov_b32 v197, v118 :: v_dual_mov_b32 v198, v117
	v_dual_mov_b32 v199, v121 :: v_dual_mov_b32 v200, v120
	v_dual_mov_b32 v201, v126 :: v_dual_mov_b32 v202, v125
	.loc	1 32 25 is_stmt 1               ; indirect_matmul.py:32:25
	v_add_co_u32 v89, vcc_lo, 0x100, v89
	s_delay_alu instid0(VALU_DEP_1)
	v_add_co_ci_u32_e64 v90, null, 0, v90, vcc_lo
	.loc	1 35 20                         ; indirect_matmul.py:35:20
	s_waitcnt vmcnt(0) lgkmcnt(0)
	s_barrier
	buffer_gl0_inv
	.loc	1 36 20                         ; indirect_matmul.py:36:20
	s_clause 0x1f
	global_load_u16 v96, v[33:34], off
	global_load_u16 v95, v[35:36], off
	;; [unrolled: 1-line block ×32, first 2 shown]
	.loc	1 35 20                         ; indirect_matmul.py:35:20
	ds_load_u16 v35, v135 offset:512
	ds_load_u16 v36, v135 offset:768
	;; [unrolled: 1-line block ×58, first 2 shown]
	ds_load_u16 v33, v135
	s_waitcnt lgkmcnt(52)
	ds_load_u16_d16_hi v37, v135 offset:1152
	s_waitcnt lgkmcnt(52)
	ds_load_u16_d16_hi v38, v135 offset:1408
	;; [unrolled: 2-line block ×3, first 2 shown]
	ds_load_u16 v34, v135 offset:256
	ds_load_u16 v41, v135 offset:64
	s_waitcnt lgkmcnt(44)
	ds_load_u16_d16_hi v74, v135 offset:4544
	ds_load_u16 v64, v135 offset:3904
	s_waitcnt lgkmcnt(22)
	ds_load_u16_d16_hi v174, v135 offset:7616
	ds_load_u16 v172, v135 offset:6976
	ds_load_u16 v171, v135 offset:6720
	ds_load_u16_d16_hi v35, v135 offset:640
	ds_load_u16_d16_hi v36, v135 offset:896
	;; [unrolled: 1-line block ×18, first 2 shown]
	s_waitcnt lgkmcnt(42)
	ds_load_u16_d16_hi v69, v135 offset:5248
	ds_load_u16_d16_hi v68, v135 offset:4992
	s_waitcnt lgkmcnt(40)
	ds_load_u16_d16_hi v76, v135 offset:5056
	ds_load_u16_d16_hi v75, v135 offset:4800
	;; [unrolled: 3-line block ×4, first 2 shown]
	ds_load_u16_d16_hi v71, v135 offset:5760
	ds_load_u16_d16_hi v72, v135 offset:6016
	;; [unrolled: 1-line block ×6, first 2 shown]
	s_waitcnt lgkmcnt(43)
	ds_load_u16_d16_hi v176, v135 offset:8128
	ds_load_u16_d16_hi v175, v135 offset:7872
	s_waitcnt lgkmcnt(44)
	ds_load_u16_d16_hi v33, v135 offset:128
	s_waitcnt lgkmcnt(41)
	;; [unrolled: 2-line block ×3, first 2 shown]
	ds_load_u16_d16_hi v41, v135 offset:192
	ds_load_u16_d16_hi v43, v135 offset:704
	;; [unrolled: 1-line block ×3, first 2 shown]
	s_waitcnt lgkmcnt(42)
	ds_load_u16_d16_hi v64, v135 offset:4032
	ds_load_u16_d16_hi v53, v135 offset:3200
	;; [unrolled: 1-line block ×7, first 2 shown]
	s_waitcnt lgkmcnt(47)
	ds_load_u16_d16_hi v172, v135 offset:7104
	ds_load_u16_d16_hi v81, v135 offset:6272
	;; [unrolled: 1-line block ×11, first 2 shown]
	s_waitcnt lgkmcnt(57)
	ds_load_u16_d16_hi v171, v135 offset:6848
	ds_load_u16_d16_hi v170, v135 offset:6592
	.loc	1 38 21                         ; indirect_matmul.py:38:21
	ds_store_b16 v119, v177 offset:8192
	ds_store_b16 v119, v178 offset:8448
	;; [unrolled: 1-line block ×32, first 2 shown]
	s_waitcnt vmcnt(0) lgkmcnt(0)
	s_barrier
	buffer_gl0_inv
	ds_load_u16 v178, v136 offset:8448
	ds_load_u16 v179, v136 offset:8704
	;; [unrolled: 1-line block ×26, first 2 shown]
	.loc	1 35 20                         ; indirect_matmul.py:35:20
	ds_store_b16 v119, v152 offset:256
	ds_store_b16 v119, v153 offset:512
	;; [unrolled: 1-line block ×8, first 2 shown]
	.loc	1 38 21                         ; indirect_matmul.py:38:21
	ds_load_u16 v214, v136 offset:13568
	ds_load_u16 v215, v136 offset:13824
	;; [unrolled: 1-line block ×6, first 2 shown]
	.loc	1 35 20                         ; indirect_matmul.py:35:20
	ds_store_b16 v119, v144 offset:2560
	ds_store_b16 v119, v145 offset:2816
	;; [unrolled: 1-line block ×8, first 2 shown]
	.loc	1 38 21                         ; indirect_matmul.py:38:21
	ds_load_u16 v155, v136 offset:13888
	ds_load_u16 v154, v136 offset:13632
	;; [unrolled: 1-line block ×4, first 2 shown]
	.loc	1 35 20                         ; indirect_matmul.py:35:20
	ds_store_b16 v119, v160
	ds_store_b16 v119, v140 offset:4864
	ds_store_b16 v119, v141 offset:5120
	;; [unrolled: 1-line block ×8, first 2 shown]
	.loc	1 38 21                         ; indirect_matmul.py:38:21
	ds_load_u16 v221, v136 offset:15360
	ds_load_u16 v222, v136 offset:15616
	;; [unrolled: 1-line block ×15, first 2 shown]
	s_waitcnt lgkmcnt(62)
	ds_load_u16_d16_hi v182, v136 offset:9600
	ds_load_u16_d16_hi v189, v136 offset:9408
	ds_load_u16 v185, v136 offset:8256
	ds_load_u16_d16_hi v178, v136 offset:8576
	ds_load_u16 v187, v136 offset:8768
	ds_load_u16 v186, v136 offset:8512
	;; [unrolled: 1-line block ×3, first 2 shown]
	ds_load_u16_d16_hi v183, v136 offset:9856
	ds_load_u16 v191, v136 offset:9792
	ds_load_u16_d16_hi v184, v136 offset:10112
	ds_load_u16 v201, v136 offset:10304
	ds_load_u16 v202, v136 offset:10560
	;; [unrolled: 1-line block ×3, first 2 shown]
	ds_load_u16_d16_hi v181, v136 offset:9344
	ds_load_u16_d16_hi v179, v136 offset:8832
	;; [unrolled: 1-line block ×4, first 2 shown]
	s_waitcnt lgkmcnt(62)
	ds_load_u16_d16_hi v208, v136 offset:12224
	ds_load_u16_d16_hi v209, v136 offset:12416
	ds_load_u16 v198, v136 offset:11520
	ds_load_u16_d16_hi v199, v136 offset:11904
	ds_load_u16_d16_hi v200, v136 offset:12160
	ds_load_u16 v149, v136 offset:12352
	ds_load_u16 v150, v136 offset:12608
	;; [unrolled: 1-line block ×3, first 2 shown]
	ds_load_u16_d16_hi v194, v136 offset:10624
	ds_load_u16_d16_hi v195, v136 offset:10880
	ds_load_u16_d16_hi v196, v136 offset:11136
	ds_load_u16_d16_hi v203, v136 offset:10944
	ds_load_u16_d16_hi v197, v136 offset:11392
	ds_load_u16_d16_hi v204, v136 offset:11200
	s_waitcnt lgkmcnt(37)
	ds_load_u16_d16_hi v141, v136 offset:14784
	ds_load_u16 v217, v136 offset:14336
	ds_load_u16_d16_hi v211, v136 offset:12928
	ds_load_u16_d16_hi v212, v136 offset:13184
	;; [unrolled: 1-line block ×9, first 2 shown]
	s_waitcnt lgkmcnt(47)
	ds_load_u16_d16_hi v224, v136 offset:16256
	s_waitcnt lgkmcnt(45)
	ds_load_u16_d16_hi v146, v136 offset:16064
	ds_load_u16_d16_hi v145, v136 offset:15808
	;; [unrolled: 1-line block ×3, first 2 shown]
	s_waitcnt lgkmcnt(46)
	ds_load_u16_d16_hi v177, v136 offset:8320
	s_waitcnt lgkmcnt(44)
	ds_load_u16_d16_hi v185, v136 offset:8384
	s_waitcnt lgkmcnt(43)
	ds_load_u16_d16_hi v187, v136 offset:8896
	s_waitcnt lgkmcnt(43)
	ds_load_u16_d16_hi v186, v136 offset:8640
	s_waitcnt lgkmcnt(43)
	ds_load_u16_d16_hi v190, v136 offset:9664
	s_waitcnt lgkmcnt(42)
	ds_load_u16_d16_hi v191, v136 offset:9920
	s_waitcnt lgkmcnt(39)
	ds_load_u16_d16_hi v192, v136 offset:10176
	ds_load_u16_d16_hi v193, v136 offset:10368
	ds_load_u16_d16_hi v202, v136 offset:10688
	;; [unrolled: 1-line block ×3, first 2 shown]
	s_waitcnt lgkmcnt(36)
	ds_load_u16_d16_hi v198, v136 offset:11648
	ds_load_u16_d16_hi v205, v136 offset:11456
	;; [unrolled: 1-line block ×4, first 2 shown]
	s_waitcnt lgkmcnt(35)
	ds_load_u16_d16_hi v151, v136 offset:12992
	s_waitcnt lgkmcnt(28)
	ds_load_u16_d16_hi v217, v136 offset:14464
	ds_load_u16_d16_hi v213, v136 offset:13440
	;; [unrolled: 1-line block ×16, first 2 shown]
	.loc	1 35 20                         ; indirect_matmul.py:35:20
	ds_store_b16 v119, v164 offset:7168
	ds_store_b16 v119, v163 offset:7424
	ds_store_b16 v122, v137
	ds_store_b16 v123, v138
	;; [unrolled: 1-line block ×3, first 2 shown]
	ds_store_b16 v119, v161 offset:7680
	ds_store_b16 v128, v162
	.loc	1 38 26                         ; indirect_matmul.py:38:26
	s_waitcnt lgkmcnt(37)
	v_wmma_f32_16x16x16_f16 v[9:16], v[33:40], v[177:184], v[9:16]
	v_wmma_f32_16x16x16_f16 v[25:32], v[41:48], v[177:184], v[25:32]
	s_waitcnt lgkmcnt(31)
	v_wmma_f32_16x16x16_f16 v[17:24], v[33:40], v[185:192], v[17:24]
	v_wmma_f32_16x16x16_f16 v[1:8], v[41:48], v[185:192], v[1:8]
	;; [unrolled: 3-line block ×8, first 2 shown]
	.loc	1 32 25                         ; indirect_matmul.py:32:25
	s_cbranch_scc1 .LBB0_130
	s_branch .LBB0_132
.LBB0_131:
	.loc	1 0 25 is_stmt 0                ; indirect_matmul.py:0:25
	v_mov_b32_e32 v8, 0
	s_delay_alu instid0(VALU_DEP_1)
	v_mov_b32_e32 v7, v8
	v_mov_b32_e32 v6, v8
	;; [unrolled: 1-line block ×31, first 2 shown]
.LBB0_132:                              ; %Flow425
	.loc	1 35 20 is_stmt 1               ; indirect_matmul.py:35:20
	v_and_b32_e32 v33, 15, v0
	s_waitcnt lgkmcnt(0)
	s_barrier
	buffer_gl0_inv
	s_load_b32 s0, s[0:1], 0x8
	v_lshlrev_b32_e32 v202, 1, v33
	.loc	1 32 25                         ; indirect_matmul.py:32:25
	s_add_i32 s12, s12, 63
	s_delay_alu instid0(SALU_CYCLE_1) | instskip(NEXT) | instid1(VALU_DEP_1)
	s_cmp_lt_i32 s12, 64
	.loc	1 35 20                         ; indirect_matmul.py:35:20
	v_add3_u32 v145, 0, v94, v202
	ds_load_u16 v170, v145
	ds_load_u16 v171, v145 offset:128
	ds_load_u16 v174, v145 offset:256
	;; [unrolled: 1-line block ×127, first 2 shown]
	.loc	1 38 21                         ; indirect_matmul.py:38:21
	ds_store_b16 v119, v96 offset:8192
	ds_store_b16 v119, v95 offset:8448
	;; [unrolled: 1-line block ×32, first 2 shown]
	s_waitcnt lgkmcnt(0)
	s_barrier
	buffer_gl0_inv
	s_cbranch_scc1 .LBB0_134
; %bb.133:
	v_add3_u32 v95, 0, v127, v202
	.loc	1 38 26 is_stmt 0               ; indirect_matmul.py:38:26
	v_perm_b32 v102, v191, v190, 0x5040100
	v_perm_b32 v101, v185, v184, 0x5040100
	;; [unrolled: 1-line block ×11, first 2 shown]
	.loc	1 38 21                         ; indirect_matmul.py:38:21
	ds_load_u16 v127, v95 offset:16192
	ds_load_u16 v126, v95 offset:15936
	;; [unrolled: 1-line block ×27, first 2 shown]
	.loc	1 38 26                         ; indirect_matmul.py:38:26
	v_perm_b32 v103, v193, v192, 0x5040100
	v_perm_b32 v114, v187, v186, 0x5040100
	;; [unrolled: 1-line block ×10, first 2 shown]
	.loc	1 38 21                         ; indirect_matmul.py:38:21
	s_waitcnt lgkmcnt(23)
	ds_load_u16_d16_hi v189, v95 offset:14208
	ds_load_u16_d16_hi v180, v95 offset:14016
	ds_load_u16 v183, v95 offset:12544
	ds_load_u16 v204, v95 offset:11840
	s_waitcnt lgkmcnt(21)
	ds_load_u16_d16_hi v209, v95 offset:11136
	ds_load_u16_d16_hi v200, v95 offset:10944
	ds_load_u16 v120, v95 offset:14400
	ds_load_u16 v191, v95 offset:14592
	s_waitcnt lgkmcnt(22)
	ds_load_u16_d16_hi v123, v95 offset:15296
	s_waitcnt lgkmcnt(22)
	ds_load_u16_d16_hi v194, v95 offset:15488
	ds_load_u16 v193, v95 offset:15104
	ds_load_u16 v192, v95 offset:14848
	s_waitcnt lgkmcnt(23)
	ds_load_u16_d16_hi v190, v95 offset:14464
	ds_load_u16_d16_hi v181, v95 offset:14272
	ds_load_u16 v202, v95 offset:11328
	s_waitcnt lgkmcnt(21)
	ds_load_u16_d16_hi v205, v95 offset:12224
	s_waitcnt lgkmcnt(21)
	ds_load_u16_d16_hi v182, v95 offset:12416
	ds_load_u16 v213, v95 offset:12032
	ds_load_u16 v212, v95 offset:11776
	;; [unrolled: 1-line block ×3, first 2 shown]
	s_waitcnt lgkmcnt(22)
	ds_load_u16_d16_hi v210, v95 offset:11392
	ds_load_u16_d16_hi v201, v95 offset:11200
	.loc	1 38 26                         ; indirect_matmul.py:38:26
	v_perm_b32 v232, v51, v53, 0x5040100
	v_perm_b32 v231, v42, v44, 0x5040100
	;; [unrolled: 1-line block ×10, first 2 shown]
	.loc	1 38 21                         ; indirect_matmul.py:38:21
	ds_load_u16 v217, v95 offset:9024
	ds_load_u16 v227, v95 offset:9472
	ds_load_u16 v226, v95 offset:9216
	ds_load_u16_d16_hi v125, v95 offset:15808
	ds_load_u16 v121, v95 offset:14656
	s_waitcnt lgkmcnt(19)
	ds_load_u16_d16_hi v191, v95 offset:14720
	ds_load_u16_d16_hi v120, v95 offset:14528
	ds_load_u16 v219, v95 offset:9536
	ds_load_u16 v228, v95 offset:9728
	;; [unrolled: 1-line block ×4, first 2 shown]
	ds_load_u16_d16_hi v175, v95 offset:12736
	ds_load_u16 v203, v95 offset:11584
	s_waitcnt lgkmcnt(15)
	ds_load_u16_d16_hi v211, v95 offset:11648
	ds_load_u16_d16_hi v202, v95 offset:11456
	ds_load_u16 v198, v95 offset:10304
	ds_load_u16 v229, v95 offset:9984
	;; [unrolled: 1-line block ×8, first 2 shown]
	ds_load_u16_d16_hi v122, v95 offset:15040
	s_waitcnt lgkmcnt(19)
	ds_load_u16_d16_hi v121, v95 offset:14784
	ds_load_u16_d16_hi v192, v95 offset:14976
	.loc	1 38 26                         ; indirect_matmul.py:38:26
	v_perm_b32 v159, v155, v154, 0x5040100
	v_perm_b32 v61, v78, v80, 0x5040100
	;; [unrolled: 1-line block ×10, first 2 shown]
	.loc	1 38 21                         ; indirect_matmul.py:38:21
	ds_load_u16_d16_hi v217, v95 offset:9152
	ds_load_u16_d16_hi v227, v95 offset:9600
	;; [unrolled: 1-line block ×3, first 2 shown]
	ds_load_u16 v225, v95 offset:8960
	ds_load_u16 v224, v95 offset:8704
	;; [unrolled: 1-line block ×5, first 2 shown]
	s_waitcnt lgkmcnt(25)
	ds_load_u16_d16_hi v228, v95 offset:9856
	ds_load_u16_d16_hi v219, v95 offset:9664
	s_waitcnt lgkmcnt(25)
	ds_load_u16_d16_hi v223, v95 offset:8576
	ds_load_u16_d16_hi v214, v95 offset:8384
	ds_load_u16 v177, v95 offset:13120
	ds_load_u16 v188, v95 offset:13824
	;; [unrolled: 1-line block ×5, first 2 shown]
	ds_load_u16_d16_hi v184, v95 offset:12928
	s_waitcnt lgkmcnt(23)
	ds_load_u16_d16_hi v206, v95 offset:10368
	ds_load_u16_d16_hi v221, v95 offset:10176
	;; [unrolled: 1-line block ×4, first 2 shown]
	s_waitcnt lgkmcnt(26)
	ds_load_u16_d16_hi v216, v95 offset:8896
	s_waitcnt lgkmcnt(26)
	ds_load_u16_d16_hi v215, v95 offset:8640
	.loc	1 38 26                         ; indirect_matmul.py:38:26
	v_perm_b32 v44, v143, v145, 0x5040100
	v_perm_b32 v43, v46, v48, 0x5040100
	;; [unrolled: 1-line block ×4, first 2 shown]
	.loc	1 38 21                         ; indirect_matmul.py:38:21
	s_waitcnt lgkmcnt(20)
	ds_load_u16_d16_hi v225, v95 offset:9088
	s_waitcnt lgkmcnt(20)
	ds_load_u16_d16_hi v224, v95 offset:8832
	;; [unrolled: 2-line block ×3, first 2 shown]
	ds_load_u16_d16_hi v204, v95 offset:11968
	ds_load_u16_d16_hi v203, v95 offset:11712
	;; [unrolled: 1-line block ×6, first 2 shown]
	s_waitcnt lgkmcnt(26)
	ds_load_u16_d16_hi v208, v95 offset:10880
	s_waitcnt lgkmcnt(26)
	ds_load_u16_d16_hi v207, v95 offset:10624
	;; [unrolled: 2-line block ×3, first 2 shown]
	ds_load_u16_d16_hi v177, v95 offset:13248
	ds_load_u16_d16_hi v218, v95 offset:9408
	;; [unrolled: 1-line block ×12, first 2 shown]
	s_waitcnt lgkmcnt(31)
	ds_load_u16_d16_hi v176, v95 offset:12992
	ds_load_u16_d16_hi v185, v95 offset:13184
	;; [unrolled: 1-line block ×5, first 2 shown]
	.loc	1 38 26                         ; indirect_matmul.py:38:26
	v_perm_b32 v40, v38, v39, 0x5040100
	v_perm_b32 v39, v34, v36, 0x5040100
	;; [unrolled: 1-line block ×3, first 2 shown]
	s_waitcnt lgkmcnt(26)
	v_wmma_f32_16x16x16_f16 v[9:16], v[96:103], v[222:229], v[9:16]
	v_wmma_f32_16x16x16_f16 v[25:32], v[230:237], v[222:229], v[25:32]
	v_perm_b32 v229, v82, v84, 0x5040100
	v_perm_b32 v228, v83, v85, 0x5040100
	;; [unrolled: 1-line block ×8, first 2 shown]
	s_waitcnt lgkmcnt(15)
	v_wmma_f32_16x16x16_f16 v[17:24], v[96:103], v[214:221], v[17:24]
	v_wmma_f32_16x16x16_f16 v[1:8], v[230:237], v[214:221], v[1:8]
	;; [unrolled: 1-line block ×3, first 2 shown]
	v_perm_b32 v65, v111, v136, 0x5040100
	v_wmma_f32_16x16x16_f16 v[25:32], v[222:229], v[206:213], v[25:32]
	v_perm_b32 v64, v135, v137, 0x5040100
	v_perm_b32 v63, v86, v88, 0x5040100
	;; [unrolled: 1-line block ×3, first 2 shown]
	v_wmma_f32_16x16x16_f16 v[17:24], v[112:119], v[198:205], v[17:24]
	v_wmma_f32_16x16x16_f16 v[1:8], v[222:229], v[198:205], v[1:8]
	s_waitcnt lgkmcnt(3)
	v_wmma_f32_16x16x16_f16 v[9:16], v[159:166], v[182:189], v[9:16]
	v_perm_b32 v57, v153, v152, 0x5040100
	v_perm_b32 v56, v151, v150, 0x5040100
	;; [unrolled: 1-line block ×4, first 2 shown]
	v_wmma_f32_16x16x16_f16 v[25:32], v[58:65], v[182:189], v[25:32]
	v_wmma_f32_16x16x16_f16 v[17:24], v[159:166], v[174:181], v[17:24]
	v_wmma_f32_16x16x16_f16 v[1:8], v[58:65], v[174:181], v[1:8]
	s_waitcnt lgkmcnt(0)
	v_wmma_f32_16x16x16_f16 v[9:16], v[50:57], v[190:197], v[9:16]
	v_wmma_f32_16x16x16_f16 v[25:32], v[38:45], v[190:197], v[25:32]
	;; [unrolled: 1-line block ×4, first 2 shown]
.LBB0_134:                              ; %._crit_edge._crit_edge
	.loc	1 26 35 is_stmt 1               ; indirect_matmul.py:26:35
	v_lshrrev_b32_e32 v0, 4, v0
	v_lshrrev_b32_e32 v34, 1, v94
	s_delay_alu instid0(VALU_DEP_1) | instskip(SKIP_1) | instid1(VALU_DEP_2)
	v_and_or_b32 v0, v0, 1, v34
	.loc	1 42 28                         ; indirect_matmul.py:42:28
	v_lshrrev_b32_e32 v34, 2, v91
	.loc	1 26 35                         ; indirect_matmul.py:26:35
	v_or_b32_e32 v35, 2, v0
	s_delay_alu instid0(VALU_DEP_2)
	.loc	1 42 28                         ; indirect_matmul.py:42:28
	v_or_b32_e32 v33, v34, v33
	.loc	1 26 35                         ; indirect_matmul.py:26:35
	v_or_b32_e32 v37, 4, v0
	v_or_b32_e32 v39, 6, v0
	;; [unrolled: 1-line block ×3, first 2 shown]
	.loc	1 42 48                         ; indirect_matmul.py:42:48
	v_mul_lo_u32 v35, v35, s0
	.loc	1 42 21 is_stmt 0               ; indirect_matmul.py:42:21
	v_lshlrev_b32_e32 v33, 2, v33
	.loc	1 26 35 is_stmt 1               ; indirect_matmul.py:26:35
	v_or_b32_e32 v41, 8, v0
	.loc	1 42 48                         ; indirect_matmul.py:42:48
	v_mul_lo_u32 v37, v37, s0
	.loc	1 26 35                         ; indirect_matmul.py:26:35
	v_or_b32_e32 v36, 40, v0
	v_or_b32_e32 v43, 10, v0
	.loc	1 42 21                         ; indirect_matmul.py:42:21
	v_add_co_u32 v65, s1, s2, v33
	.loc	1 42 48 is_stmt 0               ; indirect_matmul.py:42:48
	v_mul_lo_u32 v33, v0, s0
	v_mul_lo_u32 v39, v39, s0
	.loc	1 26 35 is_stmt 1               ; indirect_matmul.py:26:35
	v_or_b32_e32 v38, 46, v0
	v_or_b32_e32 v45, 12, v0
	.loc	1 42 48                         ; indirect_matmul.py:42:48
	v_mul_lo_u32 v41, v41, s0
	v_mul_lo_u32 v47, v34, s0
	.loc	1 26 35                         ; indirect_matmul.py:26:35
	v_or_b32_e32 v40, 44, v0
	.loc	1 42 48                         ; indirect_matmul.py:42:48
	v_mul_lo_u32 v43, v43, s0
	.loc	1 42 39 is_stmt 0               ; indirect_matmul.py:42:39
	v_ashrrev_i32_e32 v34, 31, v33
	.loc	1 42 48                         ; indirect_matmul.py:42:48
	v_mul_lo_u32 v57, v36, s0
	.loc	1 42 39                         ; indirect_matmul.py:42:39
	v_ashrrev_i32_e32 v36, 31, v35
	.loc	1 26 35 is_stmt 1               ; indirect_matmul.py:26:35
	v_or_b32_e32 v42, 42, v0
	v_or_b32_e32 v49, 32, v0
	.loc	1 42 48                         ; indirect_matmul.py:42:48
	v_mul_lo_u32 v45, v45, s0
	v_mul_lo_u32 v63, v38, s0
	.loc	1 42 39 is_stmt 0               ; indirect_matmul.py:42:39
	v_ashrrev_i32_e32 v38, 31, v37
	.loc	1 26 35 is_stmt 1               ; indirect_matmul.py:26:35
	v_or_b32_e32 v44, 38, v0
	v_or_b32_e32 v48, 34, v0
	.loc	1 42 39                         ; indirect_matmul.py:42:39
	v_lshlrev_b64 v[33:34], 2, v[33:34]
	.loc	1 42 48 is_stmt 0               ; indirect_matmul.py:42:48
	v_mul_lo_u32 v61, v40, s0
	.loc	1 42 39                         ; indirect_matmul.py:42:39
	v_ashrrev_i32_e32 v40, 31, v39
	.loc	1 26 35 is_stmt 1               ; indirect_matmul.py:26:35
	v_or_b32_e32 v46, 36, v0
	.loc	1 42 39                         ; indirect_matmul.py:42:39
	v_lshlrev_b64 v[35:36], 2, v[35:36]
	.loc	1 42 21 is_stmt 0               ; indirect_matmul.py:42:21
	v_add_co_ci_u32_e64 v66, null, s3, 0, s1
	.loc	1 42 48                         ; indirect_matmul.py:42:48
	v_mul_lo_u32 v49, v49, s0
	v_mul_lo_u32 v59, v42, s0
	.loc	1 42 39                         ; indirect_matmul.py:42:39
	v_ashrrev_i32_e32 v42, 31, v41
	v_lshlrev_b64 v[37:38], 2, v[37:38]
	.loc	1 42 48                         ; indirect_matmul.py:42:48
	v_mul_lo_u32 v51, v48, s0
	v_mul_lo_u32 v55, v44, s0
	.loc	1 42 39                         ; indirect_matmul.py:42:39
	v_ashrrev_i32_e32 v44, 31, v43
	v_add_co_u32 v33, vcc_lo, v65, v33
	v_lshlrev_b64 v[39:40], 2, v[39:40]
	.loc	1 42 48                         ; indirect_matmul.py:42:48
	v_mul_lo_u32 v53, v46, s0
	.loc	1 42 39                         ; indirect_matmul.py:42:39
	v_ashrrev_i32_e32 v46, 31, v45
	v_add_co_ci_u32_e64 v34, null, v66, v34, vcc_lo
	v_add_co_u32 v35, vcc_lo, v65, v35
	v_lshlrev_b64 v[41:42], 2, v[41:42]
	v_ashrrev_i32_e32 v48, 31, v47
	v_add_co_ci_u32_e64 v36, null, v66, v36, vcc_lo
	v_add_co_u32 v37, vcc_lo, v65, v37
	v_lshlrev_b64 v[43:44], 2, v[43:44]
	;; [unrolled: 4-line block ×10, first 2 shown]
	v_add_co_ci_u32_e64 v54, null, v66, v54, vcc_lo
	v_add_co_u32 v55, vcc_lo, v65, v55
	v_lshlrev_b64 v[61:62], 2, v[61:62]
	v_add_co_ci_u32_e64 v56, null, v66, v56, vcc_lo
	v_add_co_u32 v57, vcc_lo, v65, v57
	v_lshlrev_b64 v[63:64], 2, v[63:64]
	v_add_co_ci_u32_e64 v58, null, v66, v58, vcc_lo
	v_add_co_u32 v59, vcc_lo, v65, v59
	s_delay_alu instid0(VALU_DEP_1) | instskip(SKIP_1) | instid1(VALU_DEP_1)
	v_add_co_ci_u32_e64 v60, null, v66, v60, vcc_lo
	v_add_co_u32 v61, vcc_lo, v65, v61
	v_add_co_ci_u32_e64 v62, null, v66, v62, vcc_lo
	v_add_co_u32 v63, vcc_lo, v65, v63
	s_delay_alu instid0(VALU_DEP_1)
	v_add_co_ci_u32_e64 v64, null, v66, v64, vcc_lo
	.loc	1 43 23 is_stmt 1               ; indirect_matmul.py:43:23
	s_clause 0x1f
	global_store_b32 v[33:34], v9, off
	global_store_b32 v[35:36], v10, off
	;; [unrolled: 1-line block ×16, first 2 shown]
	global_store_b32 v[33:34], v17, off offset:128
	global_store_b32 v[35:36], v18, off offset:128
	;; [unrolled: 1-line block ×16, first 2 shown]
	.loc	1 43 4 is_stmt 0                ; indirect_matmul.py:43:4
	s_nop 0
	s_sendmsg sendmsg(MSG_DEALLOC_VGPRS)
	s_endpgm
.Ltmp1:
	.section	.rodata,"a",@progbits
	.p2align	6, 0x0
	.amdhsa_kernel indirect_matmul_kernel
		.amdhsa_group_segment_fixed_size 0
		.amdhsa_private_segment_fixed_size 0
		.amdhsa_kernarg_size 80
		.amdhsa_user_sgpr_count 15
		.amdhsa_user_sgpr_dispatch_ptr 0
		.amdhsa_user_sgpr_queue_ptr 0
		.amdhsa_user_sgpr_kernarg_segment_ptr 1
		.amdhsa_user_sgpr_dispatch_id 0
		.amdhsa_user_sgpr_private_segment_size 0
		.amdhsa_wavefront_size32 1
		.amdhsa_uses_dynamic_stack 0
		.amdhsa_enable_private_segment 0
		.amdhsa_system_sgpr_workgroup_id_x 1
		.amdhsa_system_sgpr_workgroup_id_y 0
		.amdhsa_system_sgpr_workgroup_id_z 0
		.amdhsa_system_sgpr_workgroup_info 0
		.amdhsa_system_vgpr_workitem_id 0
		.amdhsa_next_free_vgpr 238
		.amdhsa_next_free_sgpr 14
		.amdhsa_reserve_vcc 1
		.amdhsa_float_round_mode_32 0
		.amdhsa_float_round_mode_16_64 0
		.amdhsa_float_denorm_mode_32 3
		.amdhsa_float_denorm_mode_16_64 3
		.amdhsa_dx10_clamp 1
		.amdhsa_ieee_mode 1
		.amdhsa_fp16_overflow 0
		.amdhsa_workgroup_processor_mode 1
		.amdhsa_memory_ordered 1
		.amdhsa_forward_progress 1
		.amdhsa_shared_vgpr_count 0
		.amdhsa_inst_pref_size 63
		.amdhsa_exception_fp_ieee_invalid_op 0
		.amdhsa_exception_fp_denorm_src 0
		.amdhsa_exception_fp_ieee_div_zero 0
		.amdhsa_exception_fp_ieee_overflow 0
		.amdhsa_exception_fp_ieee_underflow 0
		.amdhsa_exception_fp_ieee_inexact 0
		.amdhsa_exception_int_div_zero 0
	.end_amdhsa_kernel
	.text
.Lfunc_end0:
	.size	indirect_matmul_kernel, .Lfunc_end0-indirect_matmul_kernel
	.cfi_endproc
                                        ; -- End function
	.set indirect_matmul_kernel.num_vgpr, 238
	.set indirect_matmul_kernel.num_agpr, 0
	.set indirect_matmul_kernel.numbered_sgpr, 14
	.set indirect_matmul_kernel.num_named_barrier, 0
	.set indirect_matmul_kernel.private_seg_size, 0
	.set indirect_matmul_kernel.uses_vcc, 1
	.set indirect_matmul_kernel.uses_flat_scratch, 0
	.set indirect_matmul_kernel.has_dyn_sized_stack, 0
	.set indirect_matmul_kernel.has_recursion, 0
	.set indirect_matmul_kernel.has_indirect_call, 0
	.section	.AMDGPU.csdata,"",@progbits
; Kernel info:
; codeLenInByte = 16812
; TotalNumSgprs: 16
; NumVgprs: 238
; ScratchSize: 0
; MemoryBound: 0
; FloatMode: 240
; IeeeMode: 1
; LDSByteSize: 0 bytes/workgroup (compile time only)
; SGPRBlocks: 0
; VGPRBlocks: 29
; NumSGPRsForWavesPerEU: 16
; NumVGPRsForWavesPerEU: 238
; Occupancy: 6
; WaveLimiterHint : 1
; COMPUTE_PGM_RSRC2:SCRATCH_EN: 0
; COMPUTE_PGM_RSRC2:USER_SGPR: 15
; COMPUTE_PGM_RSRC2:TRAP_HANDLER: 0
; COMPUTE_PGM_RSRC2:TGID_X_EN: 1
; COMPUTE_PGM_RSRC2:TGID_Y_EN: 0
; COMPUTE_PGM_RSRC2:TGID_Z_EN: 0
; COMPUTE_PGM_RSRC2:TIDIG_COMP_CNT: 0
	.text
	.p2alignl 7, 3214868480
	.fill 96, 4, 3214868480
	.section	.AMDGPU.gpr_maximums,"",@progbits
	.set amdgpu.max_num_vgpr, 0
	.set amdgpu.max_num_agpr, 0
	.set amdgpu.max_num_sgpr, 0
	.set amdgpu.max_num_named_barrier, 0
	.text
	.section	.debug_abbrev,"",@progbits
	.byte	1                               ; Abbreviation Code
	.byte	17                              ; DW_TAG_compile_unit
	.byte	0                               ; DW_CHILDREN_no
	.byte	37                              ; DW_AT_producer
	.byte	14                              ; DW_FORM_strp
	.byte	19                              ; DW_AT_language
	.byte	5                               ; DW_FORM_data2
	.byte	3                               ; DW_AT_name
	.byte	14                              ; DW_FORM_strp
	.byte	16                              ; DW_AT_stmt_list
	.byte	23                              ; DW_FORM_sec_offset
	.byte	27                              ; DW_AT_comp_dir
	.byte	14                              ; DW_FORM_strp
	.byte	17                              ; DW_AT_low_pc
	.byte	1                               ; DW_FORM_addr
	.byte	18                              ; DW_AT_high_pc
	.byte	6                               ; DW_FORM_data4
	.byte	0                               ; EOM(1)
	.byte	0                               ; EOM(2)
	;; [unrolled: 1-line block ×3, first 2 shown]
	.section	.debug_info,"",@progbits
.Lcu_begin0:
	.long	.Ldebug_info_end0-.Ldebug_info_start0 ; Length of Unit
.Ldebug_info_start0:
	.short	4                               ; DWARF version number
	.long	.debug_abbrev                   ; Offset Into Abbrev. Section
	.byte	8                               ; Address Size (in bytes)
	.byte	1                               ; Abbrev [1] 0xb:0x1f DW_TAG_compile_unit
	.long	.Linfo_string0                  ; DW_AT_producer
	.short	2                               ; DW_AT_language
	.long	.Linfo_string1                  ; DW_AT_name
	.long	.Lline_table_start0             ; DW_AT_stmt_list
	.long	.Linfo_string2                  ; DW_AT_comp_dir
	.quad	.Lfunc_begin0                   ; DW_AT_low_pc
	.long	.Lfunc_end0-.Lfunc_begin0       ; DW_AT_high_pc
.Ldebug_info_end0:
	.section	.debug_str,"MS",@progbits,1
.Linfo_string0:
	.asciz	"triton"                        ; string offset=0
.Linfo_string1:
	.asciz	"indirect_matmul.py"            ; string offset=7
.Linfo_string2:
	.asciz	"/root/src/amdgpu-assembly/repos/triton-lang__triton-aot" ; string offset=26
	.section	".note.GNU-stack","",@progbits
	.amdgpu_metadata
---
amdhsa.kernels:
  - .args:
      - .address_space:  global
        .offset:         0
        .size:           8
        .value_kind:     global_buffer
      - .offset:         8
        .size:           4
        .value_kind:     by_value
      - .address_space:  global
        .offset:         16
        .size:           8
        .value_kind:     global_buffer
      - .offset:         24
        .size:           4
        .value_kind:     by_value
      - .address_space:  global
        .offset:         32
        .size:           8
        .value_kind:     global_buffer
      - .offset:         40
        .size:           4
        .value_kind:     by_value
      - .address_space:  global
        .offset:         48
        .size:           8
        .value_kind:     global_buffer
      - .offset:         56
        .size:           4
        .value_kind:     by_value
      - .address_space:  global
        .offset:         64
        .size:           8
        .value_kind:     global_buffer
      - .address_space:  global
        .offset:         72
        .size:           8
        .value_kind:     global_buffer
    .group_segment_fixed_size: 0
    .kernarg_segment_align: 8
    .kernarg_segment_size: 80
    .max_flat_workgroup_size: 128
    .name:           indirect_matmul_kernel
    .private_segment_fixed_size: 0
    .sgpr_count:     16
    .sgpr_spill_count: 0
    .symbol:         indirect_matmul_kernel.kd
    .uniform_work_group_size: 1
    .uses_dynamic_stack: false
    .vgpr_count:     238
    .vgpr_spill_count: 0
    .wavefront_size: 32
    .workgroup_processor_mode: 1
amdhsa.target:   amdgcn-amd-amdhsa--gfx1100
amdhsa.version:
  - 1
  - 2
...

	.end_amdgpu_metadata
	.section	.debug_line,"",@progbits
.Lline_table_start0:
